;; amdgpu-corpus repo=ROCm/rocFFT kind=compiled arch=gfx906 opt=O3
	.text
	.amdgcn_target "amdgcn-amd-amdhsa--gfx906"
	.amdhsa_code_object_version 6
	.protected	fft_rtc_back_len1470_factors_2_3_5_7_7_wgs_210_tpt_210_halfLds_dp_ip_CI_unitstride_sbrr_R2C_dirReg ; -- Begin function fft_rtc_back_len1470_factors_2_3_5_7_7_wgs_210_tpt_210_halfLds_dp_ip_CI_unitstride_sbrr_R2C_dirReg
	.globl	fft_rtc_back_len1470_factors_2_3_5_7_7_wgs_210_tpt_210_halfLds_dp_ip_CI_unitstride_sbrr_R2C_dirReg
	.p2align	8
	.type	fft_rtc_back_len1470_factors_2_3_5_7_7_wgs_210_tpt_210_halfLds_dp_ip_CI_unitstride_sbrr_R2C_dirReg,@function
fft_rtc_back_len1470_factors_2_3_5_7_7_wgs_210_tpt_210_halfLds_dp_ip_CI_unitstride_sbrr_R2C_dirReg: ; @fft_rtc_back_len1470_factors_2_3_5_7_7_wgs_210_tpt_210_halfLds_dp_ip_CI_unitstride_sbrr_R2C_dirReg
; %bb.0:
	s_load_dwordx2 s[12:13], s[4:5], 0x50
	s_load_dwordx4 s[8:11], s[4:5], 0x0
	s_load_dwordx2 s[2:3], s[4:5], 0x18
	v_mul_u32_u24_e32 v1, 0x139, v0
	v_add_u32_sdwa v5, s6, v1 dst_sel:DWORD dst_unused:UNUSED_PAD src0_sel:DWORD src1_sel:WORD_1
	v_mov_b32_e32 v3, 0
	s_waitcnt lgkmcnt(0)
	v_cmp_lt_u64_e64 s[0:1], s[10:11], 2
	v_mov_b32_e32 v1, 0
	v_mov_b32_e32 v6, v3
	s_and_b64 vcc, exec, s[0:1]
	v_mov_b32_e32 v2, 0
	s_cbranch_vccnz .LBB0_8
; %bb.1:
	s_load_dwordx2 s[0:1], s[4:5], 0x10
	s_add_u32 s6, s2, 8
	s_addc_u32 s7, s3, 0
	v_mov_b32_e32 v1, 0
	v_mov_b32_e32 v2, 0
	s_waitcnt lgkmcnt(0)
	s_add_u32 s14, s0, 8
	s_addc_u32 s15, s1, 0
	s_mov_b64 s[16:17], 1
.LBB0_2:                                ; =>This Inner Loop Header: Depth=1
	s_load_dwordx2 s[18:19], s[14:15], 0x0
                                        ; implicit-def: $vgpr7_vgpr8
	s_waitcnt lgkmcnt(0)
	v_or_b32_e32 v4, s19, v6
	v_cmp_ne_u64_e32 vcc, 0, v[3:4]
	s_and_saveexec_b64 s[0:1], vcc
	s_xor_b64 s[20:21], exec, s[0:1]
	s_cbranch_execz .LBB0_4
; %bb.3:                                ;   in Loop: Header=BB0_2 Depth=1
	v_cvt_f32_u32_e32 v4, s18
	v_cvt_f32_u32_e32 v7, s19
	s_sub_u32 s0, 0, s18
	s_subb_u32 s1, 0, s19
	v_mac_f32_e32 v4, 0x4f800000, v7
	v_rcp_f32_e32 v4, v4
	v_mul_f32_e32 v4, 0x5f7ffffc, v4
	v_mul_f32_e32 v7, 0x2f800000, v4
	v_trunc_f32_e32 v7, v7
	v_mac_f32_e32 v4, 0xcf800000, v7
	v_cvt_u32_f32_e32 v7, v7
	v_cvt_u32_f32_e32 v4, v4
	v_mul_lo_u32 v8, s0, v7
	v_mul_hi_u32 v9, s0, v4
	v_mul_lo_u32 v11, s1, v4
	v_mul_lo_u32 v10, s0, v4
	v_add_u32_e32 v8, v9, v8
	v_add_u32_e32 v8, v8, v11
	v_mul_hi_u32 v9, v4, v10
	v_mul_lo_u32 v11, v4, v8
	v_mul_hi_u32 v13, v4, v8
	v_mul_hi_u32 v12, v7, v10
	v_mul_lo_u32 v10, v7, v10
	v_mul_hi_u32 v14, v7, v8
	v_add_co_u32_e32 v9, vcc, v9, v11
	v_addc_co_u32_e32 v11, vcc, 0, v13, vcc
	v_mul_lo_u32 v8, v7, v8
	v_add_co_u32_e32 v9, vcc, v9, v10
	v_addc_co_u32_e32 v9, vcc, v11, v12, vcc
	v_addc_co_u32_e32 v10, vcc, 0, v14, vcc
	v_add_co_u32_e32 v8, vcc, v9, v8
	v_addc_co_u32_e32 v9, vcc, 0, v10, vcc
	v_add_co_u32_e32 v4, vcc, v4, v8
	v_addc_co_u32_e32 v7, vcc, v7, v9, vcc
	v_mul_lo_u32 v8, s0, v7
	v_mul_hi_u32 v9, s0, v4
	v_mul_lo_u32 v10, s1, v4
	v_mul_lo_u32 v11, s0, v4
	v_add_u32_e32 v8, v9, v8
	v_add_u32_e32 v8, v8, v10
	v_mul_lo_u32 v12, v4, v8
	v_mul_hi_u32 v13, v4, v11
	v_mul_hi_u32 v14, v4, v8
	;; [unrolled: 1-line block ×3, first 2 shown]
	v_mul_lo_u32 v11, v7, v11
	v_mul_hi_u32 v9, v7, v8
	v_add_co_u32_e32 v12, vcc, v13, v12
	v_addc_co_u32_e32 v13, vcc, 0, v14, vcc
	v_mul_lo_u32 v8, v7, v8
	v_add_co_u32_e32 v11, vcc, v12, v11
	v_addc_co_u32_e32 v10, vcc, v13, v10, vcc
	v_addc_co_u32_e32 v9, vcc, 0, v9, vcc
	v_add_co_u32_e32 v8, vcc, v10, v8
	v_addc_co_u32_e32 v9, vcc, 0, v9, vcc
	v_add_co_u32_e32 v4, vcc, v4, v8
	v_addc_co_u32_e32 v9, vcc, v7, v9, vcc
	v_mad_u64_u32 v[7:8], s[0:1], v5, v9, 0
	v_mul_hi_u32 v10, v5, v4
	v_add_co_u32_e32 v11, vcc, v10, v7
	v_addc_co_u32_e32 v12, vcc, 0, v8, vcc
	v_mad_u64_u32 v[7:8], s[0:1], v6, v4, 0
	v_mad_u64_u32 v[9:10], s[0:1], v6, v9, 0
	v_add_co_u32_e32 v4, vcc, v11, v7
	v_addc_co_u32_e32 v4, vcc, v12, v8, vcc
	v_addc_co_u32_e32 v7, vcc, 0, v10, vcc
	v_add_co_u32_e32 v4, vcc, v4, v9
	v_addc_co_u32_e32 v9, vcc, 0, v7, vcc
	v_mul_lo_u32 v10, s19, v4
	v_mul_lo_u32 v11, s18, v9
	v_mad_u64_u32 v[7:8], s[0:1], s18, v4, 0
	v_add3_u32 v8, v8, v11, v10
	v_sub_u32_e32 v10, v6, v8
	v_mov_b32_e32 v11, s19
	v_sub_co_u32_e32 v7, vcc, v5, v7
	v_subb_co_u32_e64 v10, s[0:1], v10, v11, vcc
	v_subrev_co_u32_e64 v11, s[0:1], s18, v7
	v_subbrev_co_u32_e64 v10, s[0:1], 0, v10, s[0:1]
	v_cmp_le_u32_e64 s[0:1], s19, v10
	v_cndmask_b32_e64 v12, 0, -1, s[0:1]
	v_cmp_le_u32_e64 s[0:1], s18, v11
	v_cndmask_b32_e64 v11, 0, -1, s[0:1]
	v_cmp_eq_u32_e64 s[0:1], s19, v10
	v_cndmask_b32_e64 v10, v12, v11, s[0:1]
	v_add_co_u32_e64 v11, s[0:1], 2, v4
	v_addc_co_u32_e64 v12, s[0:1], 0, v9, s[0:1]
	v_add_co_u32_e64 v13, s[0:1], 1, v4
	v_addc_co_u32_e64 v14, s[0:1], 0, v9, s[0:1]
	v_subb_co_u32_e32 v8, vcc, v6, v8, vcc
	v_cmp_ne_u32_e64 s[0:1], 0, v10
	v_cmp_le_u32_e32 vcc, s19, v8
	v_cndmask_b32_e64 v10, v14, v12, s[0:1]
	v_cndmask_b32_e64 v12, 0, -1, vcc
	v_cmp_le_u32_e32 vcc, s18, v7
	v_cndmask_b32_e64 v7, 0, -1, vcc
	v_cmp_eq_u32_e32 vcc, s19, v8
	v_cndmask_b32_e32 v7, v12, v7, vcc
	v_cmp_ne_u32_e32 vcc, 0, v7
	v_cndmask_b32_e64 v7, v13, v11, s[0:1]
	v_cndmask_b32_e32 v8, v9, v10, vcc
	v_cndmask_b32_e32 v7, v4, v7, vcc
.LBB0_4:                                ;   in Loop: Header=BB0_2 Depth=1
	s_andn2_saveexec_b64 s[0:1], s[20:21]
	s_cbranch_execz .LBB0_6
; %bb.5:                                ;   in Loop: Header=BB0_2 Depth=1
	v_cvt_f32_u32_e32 v4, s18
	s_sub_i32 s20, 0, s18
	v_rcp_iflag_f32_e32 v4, v4
	v_mul_f32_e32 v4, 0x4f7ffffe, v4
	v_cvt_u32_f32_e32 v4, v4
	v_mul_lo_u32 v7, s20, v4
	v_mul_hi_u32 v7, v4, v7
	v_add_u32_e32 v4, v4, v7
	v_mul_hi_u32 v4, v5, v4
	v_mul_lo_u32 v7, v4, s18
	v_add_u32_e32 v8, 1, v4
	v_sub_u32_e32 v7, v5, v7
	v_subrev_u32_e32 v9, s18, v7
	v_cmp_le_u32_e32 vcc, s18, v7
	v_cndmask_b32_e32 v7, v7, v9, vcc
	v_cndmask_b32_e32 v4, v4, v8, vcc
	v_add_u32_e32 v8, 1, v4
	v_cmp_le_u32_e32 vcc, s18, v7
	v_cndmask_b32_e32 v7, v4, v8, vcc
	v_mov_b32_e32 v8, v3
.LBB0_6:                                ;   in Loop: Header=BB0_2 Depth=1
	s_or_b64 exec, exec, s[0:1]
	v_mul_lo_u32 v4, v8, s18
	v_mul_lo_u32 v11, v7, s19
	v_mad_u64_u32 v[9:10], s[0:1], v7, s18, 0
	s_load_dwordx2 s[0:1], s[6:7], 0x0
	s_add_u32 s16, s16, 1
	v_add3_u32 v4, v10, v11, v4
	v_sub_co_u32_e32 v5, vcc, v5, v9
	v_subb_co_u32_e32 v4, vcc, v6, v4, vcc
	s_waitcnt lgkmcnt(0)
	v_mul_lo_u32 v4, s0, v4
	v_mul_lo_u32 v6, s1, v5
	v_mad_u64_u32 v[1:2], s[0:1], s0, v5, v[1:2]
	s_addc_u32 s17, s17, 0
	s_add_u32 s6, s6, 8
	v_add3_u32 v2, v6, v2, v4
	v_mov_b32_e32 v4, s10
	v_mov_b32_e32 v5, s11
	s_addc_u32 s7, s7, 0
	v_cmp_ge_u64_e32 vcc, s[16:17], v[4:5]
	s_add_u32 s14, s14, 8
	s_addc_u32 s15, s15, 0
	s_cbranch_vccnz .LBB0_9
; %bb.7:                                ;   in Loop: Header=BB0_2 Depth=1
	v_mov_b32_e32 v5, v7
	v_mov_b32_e32 v6, v8
	s_branch .LBB0_2
.LBB0_8:
	v_mov_b32_e32 v8, v6
	v_mov_b32_e32 v7, v5
.LBB0_9:
	s_lshl_b64 s[0:1], s[10:11], 3
	s_add_u32 s0, s2, s0
	s_addc_u32 s1, s3, s1
	s_load_dwordx2 s[2:3], s[0:1], 0x0
	s_load_dwordx2 s[6:7], s[4:5], 0x20
                                        ; implicit-def: $vgpr45
                                        ; implicit-def: $vgpr47
                                        ; implicit-def: $vgpr44
	s_waitcnt lgkmcnt(0)
	v_mad_u64_u32 v[1:2], s[0:1], s2, v7, v[1:2]
	s_mov_b32 s0, 0x1381382
	v_mul_lo_u32 v3, s2, v8
	v_mul_lo_u32 v4, s3, v7
	v_mul_hi_u32 v5, v0, s0
	v_cmp_gt_u64_e64 s[0:1], s[6:7], v[7:8]
	v_cmp_le_u64_e32 vcc, s[6:7], v[7:8]
	v_add3_u32 v2, v4, v2, v3
	v_mul_u32_u24_e32 v3, 0xd2, v5
	v_sub_u32_e32 v40, v0, v3
	s_and_saveexec_b64 s[2:3], vcc
	s_xor_b64 s[2:3], exec, s[2:3]
; %bb.10:
	v_add_u32_e32 v45, 0xd2, v40
	v_add_u32_e32 v47, 0x1a4, v40
	;; [unrolled: 1-line block ×3, first 2 shown]
; %bb.11:
	s_or_saveexec_b64 s[2:3], s[2:3]
	v_lshlrev_b64 v[42:43], 4, v[1:2]
	s_xor_b64 exec, exec, s[2:3]
	s_cbranch_execz .LBB0_13
; %bb.12:
	v_mov_b32_e32 v41, 0
	v_mov_b32_e32 v0, s13
	v_add_co_u32_e32 v2, vcc, s12, v42
	v_addc_co_u32_e32 v3, vcc, v0, v43, vcc
	v_lshlrev_b64 v[0:1], 4, v[40:41]
	s_movk_i32 s4, 0x1000
	v_add_co_u32_e32 v16, vcc, v2, v0
	v_addc_co_u32_e32 v17, vcc, v3, v1, vcc
	v_add_co_u32_e32 v18, vcc, s4, v16
	s_movk_i32 s5, 0x2000
	v_addc_co_u32_e32 v19, vcc, 0, v17, vcc
	v_add_co_u32_e32 v20, vcc, s5, v16
	v_addc_co_u32_e32 v21, vcc, 0, v17, vcc
	v_add_co_u32_e32 v28, vcc, 0x3000, v16
	;; [unrolled: 2-line block ×3, first 2 shown]
	global_load_dwordx4 v[0:3], v[16:17], off
	global_load_dwordx4 v[4:7], v[16:17], off offset:3360
	global_load_dwordx4 v[8:11], v[18:19], off offset:2624
	;; [unrolled: 1-line block ×3, first 2 shown]
	v_addc_co_u32_e32 v31, vcc, 0, v17, vcc
	global_load_dwordx4 v[16:19], v[28:29], off offset:1152
	global_load_dwordx4 v[20:23], v[30:31], off offset:416
	;; [unrolled: 1-line block ×3, first 2 shown]
	v_lshl_add_u32 v28, v40, 4, 0
	v_add_u32_e32 v45, 0xd2, v40
	v_add_u32_e32 v47, 0x1a4, v40
	;; [unrolled: 1-line block ×3, first 2 shown]
	s_waitcnt vmcnt(6)
	ds_write_b128 v28, v[0:3]
	s_waitcnt vmcnt(5)
	ds_write_b128 v28, v[4:7] offset:3360
	s_waitcnt vmcnt(4)
	ds_write_b128 v28, v[8:11] offset:6720
	;; [unrolled: 2-line block ×6, first 2 shown]
.LBB0_13:
	s_or_b64 exec, exec, s[2:3]
	v_lshlrev_b32_e32 v41, 4, v40
	v_add_u32_e32 v49, 0, v41
	s_waitcnt lgkmcnt(0)
	s_barrier
	ds_read_b128 v[0:3], v49 offset:11760
	ds_read_b128 v[4:7], v49
	ds_read_b128 v[8:11], v49 offset:3360
	ds_read_b128 v[12:15], v49 offset:15120
	ds_read_b128 v[16:19], v49 offset:6720
	ds_read_b128 v[20:23], v49 offset:10080
	v_add_u32_e32 v32, v49, v41
	s_waitcnt lgkmcnt(4)
	v_add_f64 v[0:1], v[4:5], -v[0:1]
	v_add_f64 v[2:3], v[6:7], -v[2:3]
	s_waitcnt lgkmcnt(2)
	v_add_f64 v[12:13], v[8:9], -v[12:13]
	v_add_f64 v[14:15], v[10:11], -v[14:15]
	s_movk_i32 s2, 0x69
	v_lshl_add_u32 v46, v45, 5, 0
	v_cmp_gt_u32_e32 vcc, s2, v40
	v_fma_f64 v[24:25], v[4:5], 2.0, -v[0:1]
	v_fma_f64 v[26:27], v[6:7], 2.0, -v[2:3]
	ds_read_b128 v[4:7], v49 offset:18480
	ds_read_b128 v[28:31], v49 offset:21840
	s_waitcnt lgkmcnt(0)
	s_barrier
	v_add_f64 v[33:34], v[16:17], -v[4:5]
	v_add_f64 v[35:36], v[18:19], -v[6:7]
	;; [unrolled: 1-line block ×4, first 2 shown]
	v_fma_f64 v[8:9], v[8:9], 2.0, -v[12:13]
	v_fma_f64 v[10:11], v[10:11], 2.0, -v[14:15]
	ds_write_b128 v32, v[0:3] offset:16
	ds_write_b128 v32, v[24:27]
	v_fma_f64 v[16:17], v[16:17], 2.0, -v[33:34]
	v_fma_f64 v[18:19], v[18:19], 2.0, -v[35:36]
	;; [unrolled: 1-line block ×4, first 2 shown]
	v_lshl_add_u32 v32, v47, 5, 0
	ds_write_b128 v46, v[8:11]
	ds_write_b128 v46, v[12:15] offset:16
	ds_write_b128 v32, v[16:19]
	ds_write_b128 v32, v[33:36] offset:16
	s_and_saveexec_b64 s[2:3], vcc
	s_cbranch_execz .LBB0_15
; %bb.14:
	v_lshl_add_u32 v8, v44, 5, 0
	ds_write_b128 v8, v[0:3]
	ds_write_b128 v8, v[4:7] offset:16
.LBB0_15:
	s_or_b64 exec, exec, s[2:3]
	v_lshlrev_b32_e32 v37, 4, v45
	v_sub_u32_e32 v12, v46, v37
	s_waitcnt lgkmcnt(0)
	s_barrier
	ds_read_b128 v[8:11], v49
	ds_read_b128 v[16:19], v49 offset:7840
	ds_read_b128 v[20:23], v49 offset:15680
	;; [unrolled: 1-line block ×3, first 2 shown]
	ds_read_b128 v[12:15], v12
	ds_read_b128 v[24:27], v49 offset:19040
	s_movk_i32 s2, 0x46
	v_cmp_gt_u32_e64 s[2:3], s2, v40
                                        ; implicit-def: $vgpr34_vgpr35
	s_and_saveexec_b64 s[4:5], s[2:3]
	s_cbranch_execz .LBB0_17
; %bb.16:
	v_lshlrev_b32_e32 v0, 4, v47
	v_sub_u32_e32 v0, v32, v0
	ds_read_b128 v[0:3], v0
	ds_read_b128 v[4:7], v49 offset:14560
	ds_read_b128 v[32:35], v49 offset:22400
.LBB0_17:
	s_or_b64 exec, exec, s[4:5]
	v_and_b32_e32 v36, 1, v40
	v_lshlrev_b32_e32 v38, 5, v36
	global_load_dwordx4 v[50:53], v38, s[8:9]
	global_load_dwordx4 v[54:57], v38, s[8:9] offset:16
	v_lshrrev_b32_e32 v38, 1, v45
	v_mul_lo_u32 v38, v38, 6
	v_sub_u32_e32 v48, 0, v37
	v_lshrrev_b32_e32 v37, 1, v40
	v_mul_u32_u24_e32 v37, 6, v37
	v_or_b32_e32 v37, v37, v36
	v_lshl_add_u32 v39, v37, 4, 0
	v_or_b32_e32 v80, v38, v36
	s_mov_b32 s4, 0xe8584caa
	s_mov_b32 s5, 0xbfebb67a
	;; [unrolled: 1-line block ×4, first 2 shown]
	s_waitcnt vmcnt(0) lgkmcnt(0)
	s_barrier
	v_mul_f64 v[37:38], v[18:19], v[52:53]
	v_mul_f64 v[58:59], v[16:17], v[52:53]
	;; [unrolled: 1-line block ×12, first 2 shown]
	v_fma_f64 v[16:17], v[16:17], v[50:51], v[37:38]
	v_fma_f64 v[18:19], v[18:19], v[50:51], -v[58:59]
	v_fma_f64 v[28:29], v[28:29], v[50:51], v[60:61]
	v_fma_f64 v[30:31], v[30:31], v[50:51], -v[62:63]
	;; [unrolled: 2-line block ×6, first 2 shown]
	v_add_f64 v[37:38], v[16:17], v[20:21]
	v_add_f64 v[50:51], v[18:19], v[22:23]
	;; [unrolled: 1-line block ×6, first 2 shown]
	v_add_f64 v[68:69], v[30:31], -v[26:27]
	v_add_f64 v[70:71], v[28:29], -v[24:25]
	v_add_f64 v[28:29], v[4:5], v[32:33]
	v_add_f64 v[30:31], v[6:7], v[34:35]
	;; [unrolled: 1-line block ×4, first 2 shown]
	v_add_f64 v[56:57], v[18:19], -v[22:23]
	v_add_f64 v[58:59], v[16:17], -v[20:21]
	v_add_f64 v[72:73], v[2:3], v[6:7]
	v_add_f64 v[74:75], v[0:1], v[4:5]
	v_add_f64 v[76:77], v[6:7], -v[34:35]
	v_add_f64 v[78:79], v[4:5], -v[32:33]
	v_fma_f64 v[8:9], v[37:38], -0.5, v[8:9]
	v_fma_f64 v[10:11], v[50:51], -0.5, v[10:11]
	;; [unrolled: 1-line block ×6, first 2 shown]
	v_add_f64 v[18:19], v[52:53], v[22:23]
	v_add_f64 v[16:17], v[54:55], v[20:21]
	;; [unrolled: 1-line block ×6, first 2 shown]
	v_fma_f64 v[24:25], v[56:57], s[4:5], v[8:9]
	v_fma_f64 v[28:29], v[56:57], s[6:7], v[8:9]
	;; [unrolled: 1-line block ×12, first 2 shown]
	v_lshl_add_u32 v37, v80, 4, 0
	ds_write_b128 v39, v[16:19]
	ds_write_b128 v39, v[24:27] offset:32
	ds_write_b128 v39, v[28:31] offset:64
	ds_write_b128 v37, v[20:23]
	ds_write_b128 v37, v[32:35] offset:32
	ds_write_b128 v37, v[0:3] offset:64
	s_and_saveexec_b64 s[4:5], s[2:3]
	s_cbranch_execz .LBB0_19
; %bb.18:
	v_lshrrev_b32_e32 v16, 1, v47
	v_mul_lo_u32 v16, v16, 6
	v_or_b32_e32 v16, v16, v36
	v_lshl_add_u32 v16, v16, 4, 0
	ds_write_b128 v16, v[4:7]
	ds_write_b128 v16, v[8:11] offset:32
	ds_write_b128 v16, v[12:15] offset:64
.LBB0_19:
	s_or_b64 exec, exec, s[4:5]
	s_waitcnt lgkmcnt(0)
	s_barrier
	ds_read_b128 v[20:23], v49
	ds_read_b128 v[36:39], v49 offset:4704
	ds_read_b128 v[32:35], v49 offset:9408
	ds_read_b128 v[28:31], v49 offset:14112
	ds_read_b128 v[24:27], v49 offset:18816
	s_movk_i32 s2, 0x54
	v_cmp_gt_u32_e64 s[2:3], s2, v40
	v_add_u32_e32 v50, v46, v48
                                        ; implicit-def: $vgpr18_vgpr19
	s_and_saveexec_b64 s[4:5], s[2:3]
	s_cbranch_execz .LBB0_21
; %bb.20:
	ds_read_b128 v[0:3], v50
	ds_read_b128 v[4:7], v49 offset:8064
	ds_read_b128 v[8:11], v49 offset:12768
	;; [unrolled: 1-line block ×4, first 2 shown]
.LBB0_21:
	s_or_b64 exec, exec, s[4:5]
	s_movk_i32 s4, 0xab
	v_mul_lo_u16_sdwa v46, v40, s4 dst_sel:DWORD dst_unused:UNUSED_PAD src0_sel:BYTE_0 src1_sel:DWORD
	v_lshrrev_b16_e32 v73, 10, v46
	v_mul_lo_u16_e32 v46, 6, v73
	v_sub_u16_e32 v74, v40, v46
	v_mov_b32_e32 v48, 6
	v_lshlrev_b32_sdwa v46, v48, v74 dst_sel:DWORD dst_unused:UNUSED_PAD src0_sel:DWORD src1_sel:BYTE_0
	global_load_dwordx4 v[51:54], v46, s[8:9] offset:64
	global_load_dwordx4 v[55:58], v46, s[8:9] offset:80
	;; [unrolled: 1-line block ×4, first 2 shown]
	v_mov_b32_e32 v46, 4
	v_mul_u32_u24_e32 v77, 0x1e0, v73
	v_lshlrev_b32_sdwa v78, v46, v74 dst_sel:DWORD dst_unused:UNUSED_PAD src0_sel:DWORD src1_sel:BYTE_0
	s_mov_b32 s4, 0x134454ff
	s_mov_b32 s5, 0xbfee6f0e
	;; [unrolled: 1-line block ×10, first 2 shown]
	s_waitcnt vmcnt(0) lgkmcnt(0)
	s_barrier
	v_mul_f64 v[67:68], v[38:39], v[53:54]
	v_mul_f64 v[53:54], v[36:37], v[53:54]
	v_mul_f64 v[69:70], v[34:35], v[57:58]
	v_mul_f64 v[71:72], v[30:31], v[61:62]
	v_mul_f64 v[57:58], v[32:33], v[57:58]
	v_fma_f64 v[36:37], v[36:37], v[51:52], v[67:68]
	v_fma_f64 v[38:39], v[38:39], v[51:52], -v[53:54]
	v_mul_f64 v[53:54], v[28:29], v[61:62]
	v_mul_f64 v[61:62], v[26:27], v[65:66]
	;; [unrolled: 1-line block ×3, first 2 shown]
	v_fma_f64 v[32:33], v[32:33], v[55:56], v[69:70]
	v_fma_f64 v[28:29], v[28:29], v[59:60], v[71:72]
	v_fma_f64 v[34:35], v[34:35], v[55:56], -v[57:58]
	v_add_f64 v[69:70], v[22:23], v[38:39]
	v_fma_f64 v[30:31], v[30:31], v[59:60], -v[53:54]
	v_fma_f64 v[24:25], v[24:25], v[63:64], v[61:62]
	v_fma_f64 v[26:27], v[26:27], v[63:64], -v[51:52]
	v_add_f64 v[59:60], v[36:37], -v[32:33]
	v_add_f64 v[51:52], v[20:21], v[36:37]
	v_add_f64 v[53:54], v[32:33], v[28:29]
	v_add_f64 v[65:66], v[32:33], -v[36:37]
	v_add_f64 v[73:74], v[38:39], -v[34:35]
	v_add_f64 v[71:72], v[34:35], v[30:31]
	v_add_f64 v[61:62], v[24:25], -v[28:29]
	v_add_f64 v[63:64], v[36:37], v[24:25]
	v_add_f64 v[67:68], v[28:29], -v[24:25]
	v_add_f64 v[55:56], v[38:39], -v[26:27]
	;; [unrolled: 1-line block ×4, first 2 shown]
	v_add_f64 v[51:52], v[51:52], v[32:33]
	v_fma_f64 v[53:54], v[53:54], -0.5, v[20:21]
	v_add_f64 v[59:60], v[59:60], v[61:62]
	v_add_f64 v[61:62], v[38:39], v[26:27]
	v_add_f64 v[38:39], v[34:35], -v[38:39]
	v_fma_f64 v[20:21], v[63:64], -0.5, v[20:21]
	v_add_f64 v[34:35], v[69:70], v[34:35]
	v_fma_f64 v[63:64], v[71:72], -0.5, v[22:23]
	v_add_f64 v[32:33], v[32:33], -v[28:29]
	v_add_f64 v[75:76], v[26:27], -v[30:31]
	v_add_f64 v[65:66], v[65:66], v[67:68]
	v_fma_f64 v[22:23], v[61:62], -0.5, v[22:23]
	v_add_f64 v[67:68], v[30:31], -v[26:27]
	v_add_f64 v[28:29], v[51:52], v[28:29]
	v_fma_f64 v[51:52], v[55:56], s[4:5], v[53:54]
	v_add_f64 v[30:31], v[34:35], v[30:31]
	v_fma_f64 v[34:35], v[36:37], s[16:17], v[63:64]
	v_fma_f64 v[61:62], v[57:58], s[16:17], v[20:21]
	v_add_f64 v[69:70], v[73:74], v[75:76]
	v_fma_f64 v[71:72], v[32:33], s[4:5], v[22:23]
	v_add_f64 v[38:39], v[38:39], v[67:68]
	v_fma_f64 v[53:54], v[55:56], s[16:17], v[53:54]
	v_fma_f64 v[67:68], v[57:58], s[4:5], v[20:21]
	;; [unrolled: 1-line block ×4, first 2 shown]
	v_add_f64 v[20:21], v[28:29], v[24:25]
	v_fma_f64 v[24:25], v[57:58], s[6:7], v[51:52]
	v_add_f64 v[22:23], v[30:31], v[26:27]
	v_fma_f64 v[26:27], v[32:33], s[14:15], v[34:35]
	v_fma_f64 v[51:52], v[55:56], s[6:7], v[61:62]
	;; [unrolled: 1-line block ×15, first 2 shown]
	v_add3_u32 v51, 0, v77, v78
	ds_write_b128 v51, v[20:23]
	ds_write_b128 v51, v[24:27] offset:96
	ds_write_b128 v51, v[32:35] offset:192
	;; [unrolled: 1-line block ×4, first 2 shown]
	s_and_saveexec_b64 s[18:19], s[2:3]
	s_cbranch_execz .LBB0_23
; %bb.22:
	s_mov_b32 s2, 0xaaab
	v_mul_u32_u24_sdwa v20, v45, s2 dst_sel:DWORD dst_unused:UNUSED_PAD src0_sel:WORD_0 src1_sel:DWORD
	v_lshrrev_b32_e32 v55, 18, v20
	v_mul_lo_u16_e32 v20, 6, v55
	v_sub_u16_e32 v63, v45, v20
	v_lshlrev_b32_e32 v36, 6, v63
	global_load_dwordx4 v[20:23], v36, s[8:9] offset:80
	global_load_dwordx4 v[24:27], v36, s[8:9] offset:64
	;; [unrolled: 1-line block ×4, first 2 shown]
	v_mul_lo_u16_e32 v64, 30, v55
	s_waitcnt vmcnt(3)
	v_mul_f64 v[36:37], v[8:9], v[22:23]
	s_waitcnt vmcnt(2)
	v_mul_f64 v[38:39], v[4:5], v[26:27]
	;; [unrolled: 2-line block ×4, first 2 shown]
	v_mul_f64 v[22:23], v[10:11], v[22:23]
	v_mul_f64 v[30:31], v[14:15], v[30:31]
	;; [unrolled: 1-line block ×4, first 2 shown]
	v_fma_f64 v[10:11], v[10:11], v[20:21], -v[36:37]
	v_fma_f64 v[6:7], v[6:7], v[24:25], -v[38:39]
	;; [unrolled: 1-line block ×4, first 2 shown]
	v_fma_f64 v[8:9], v[8:9], v[20:21], v[22:23]
	v_fma_f64 v[12:13], v[12:13], v[28:29], v[30:31]
	;; [unrolled: 1-line block ×4, first 2 shown]
	v_add_f64 v[20:21], v[10:11], -v[6:7]
	v_add_f64 v[30:31], v[6:7], -v[10:11]
	;; [unrolled: 1-line block ×3, first 2 shown]
	v_add_f64 v[26:27], v[6:7], v[18:19]
	v_add_f64 v[32:33], v[18:19], -v[14:15]
	v_add_f64 v[34:35], v[10:11], v[14:15]
	v_add_f64 v[53:54], v[4:5], v[16:17]
	;; [unrolled: 1-line block ×4, first 2 shown]
	v_add_f64 v[28:29], v[4:5], -v[16:17]
	v_add_f64 v[38:39], v[8:9], -v[4:5]
	;; [unrolled: 1-line block ×3, first 2 shown]
	v_add_f64 v[4:5], v[0:1], v[4:5]
	v_add_f64 v[24:25], v[8:9], -v[12:13]
	v_add_f64 v[51:52], v[12:13], -v[16:17]
	;; [unrolled: 1-line block ×3, first 2 shown]
	v_add_f64 v[20:21], v[20:21], v[22:23]
	v_fma_f64 v[22:23], v[26:27], -0.5, v[2:3]
	v_add_f64 v[26:27], v[30:31], v[32:33]
	v_fma_f64 v[2:3], v[34:35], -0.5, v[2:3]
	v_fma_f64 v[32:33], v[53:54], -0.5, v[0:1]
	;; [unrolled: 1-line block ×3, first 2 shown]
	v_add_f64 v[55:56], v[10:11], -v[14:15]
	v_add_f64 v[10:11], v[36:37], v[10:11]
	v_add_f64 v[4:5], v[4:5], v[8:9]
	v_add_f64 v[59:60], v[16:17], -v[12:13]
	v_add_f64 v[30:31], v[38:39], v[51:52]
	v_fma_f64 v[8:9], v[24:25], s[16:17], v[22:23]
	v_fma_f64 v[22:23], v[24:25], s[4:5], v[22:23]
	;; [unrolled: 1-line block ×6, first 2 shown]
	v_add_f64 v[10:11], v[10:11], v[14:15]
	v_fma_f64 v[14:15], v[55:56], s[4:5], v[32:33]
	v_fma_f64 v[32:33], v[55:56], s[16:17], v[32:33]
	v_add_f64 v[4:5], v[4:5], v[12:13]
	v_add_f64 v[34:35], v[57:58], v[59:60]
	v_fma_f64 v[12:13], v[28:29], s[14:15], v[22:23]
	v_fma_f64 v[22:23], v[24:25], s[6:7], v[36:37]
	;; [unrolled: 1-line block ×8, first 2 shown]
	v_add_f64 v[2:3], v[10:11], v[18:19]
	v_add_f64 v[0:1], v[4:5], v[16:17]
	v_fma_f64 v[18:19], v[26:27], s[10:11], v[24:25]
	v_fma_f64 v[16:17], v[34:35], s[10:11], v[36:37]
	;; [unrolled: 1-line block ×8, first 2 shown]
	v_lshlrev_b32_e32 v20, 4, v64
	v_lshlrev_b32_e32 v21, 4, v63
	v_add3_u32 v20, 0, v21, v20
	ds_write_b128 v20, v[0:3]
	ds_write_b128 v20, v[16:19] offset:96
	ds_write_b128 v20, v[8:11] offset:192
	;; [unrolled: 1-line block ×4, first 2 shown]
.LBB0_23:
	s_or_b64 exec, exec, s[18:19]
	s_movk_i32 s2, 0x89
	v_mul_lo_u16_sdwa v0, v40, s2 dst_sel:DWORD dst_unused:UNUSED_PAD src0_sel:BYTE_0 src1_sel:DWORD
	v_lshrrev_b16_e32 v8, 12, v0
	v_mul_lo_u16_e32 v0, 30, v8
	v_sub_u16_e32 v9, v40, v0
	v_mul_u32_u24_sdwa v0, v9, v48 dst_sel:DWORD dst_unused:UNUSED_PAD src0_sel:BYTE_0 src1_sel:DWORD
	v_lshlrev_b32_e32 v10, 4, v0
	s_waitcnt lgkmcnt(0)
	s_barrier
	global_load_dwordx4 v[0:3], v10, s[8:9] offset:448
	global_load_dwordx4 v[4:7], v10, s[8:9] offset:464
	;; [unrolled: 1-line block ×6, first 2 shown]
	ds_read_b128 v[28:31], v50
	v_mul_u32_u24_e32 v8, 0xd20, v8
	v_lshlrev_b32_sdwa v9, v46, v9 dst_sel:DWORD dst_unused:UNUSED_PAD src0_sel:DWORD src1_sel:BYTE_0
	v_add3_u32 v46, 0, v8, v9
	v_lshl_add_u32 v11, v47, 4, 0
	v_lshl_add_u32 v10, v44, 4, 0
	ds_read_b128 v[32:35], v49
	ds_read_b128 v[36:39], v49 offset:13440
	ds_read_b128 v[51:54], v49 offset:16800
	;; [unrolled: 1-line block ×3, first 2 shown]
	ds_read_b128 v[59:62], v11
	ds_read_b128 v[63:66], v10
	s_mov_b32 s4, 0x37e14327
	s_mov_b32 s2, 0x36b3c0b5
	;; [unrolled: 1-line block ×20, first 2 shown]
	s_waitcnt vmcnt(0) lgkmcnt(0)
	s_barrier
	v_mul_f64 v[8:9], v[30:31], v[2:3]
	v_mul_f64 v[2:3], v[28:29], v[2:3]
	;; [unrolled: 1-line block ×8, first 2 shown]
	v_fma_f64 v[8:9], v[28:29], v[0:1], v[8:9]
	v_mul_f64 v[28:29], v[53:54], v[26:27]
	v_mul_f64 v[26:27], v[51:52], v[26:27]
	v_fma_f64 v[0:1], v[30:31], v[0:1], -v[2:3]
	v_mul_f64 v[2:3], v[38:39], v[22:23]
	v_mul_f64 v[22:23], v[36:37], v[22:23]
	v_fma_f64 v[30:31], v[59:60], v[4:5], v[67:68]
	v_fma_f64 v[4:5], v[61:62], v[4:5], -v[6:7]
	v_fma_f64 v[6:7], v[55:56], v[16:17], v[71:72]
	v_fma_f64 v[16:17], v[57:58], v[16:17], -v[18:19]
	;; [unrolled: 2-line block ×5, first 2 shown]
	v_add_f64 v[22:23], v[8:9], v[6:7]
	v_add_f64 v[26:27], v[0:1], v[16:17]
	v_add_f64 v[6:7], v[8:9], -v[6:7]
	v_add_f64 v[0:1], v[0:1], -v[16:17]
	v_add_f64 v[8:9], v[30:31], v[14:15]
	v_add_f64 v[16:17], v[4:5], v[24:25]
	v_add_f64 v[14:15], v[30:31], -v[14:15]
	v_add_f64 v[4:5], v[4:5], -v[24:25]
	;; [unrolled: 4-line block ×4, first 2 shown]
	v_add_f64 v[22:23], v[22:23], -v[24:25]
	v_add_f64 v[26:27], v[26:27], -v[28:29]
	;; [unrolled: 1-line block ×3, first 2 shown]
	v_add_f64 v[51:52], v[12:13], v[4:5]
	v_add_f64 v[53:54], v[2:3], -v[14:15]
	v_add_f64 v[55:56], v[12:13], -v[4:5]
	v_add_f64 v[18:19], v[24:25], v[18:19]
	v_add_f64 v[20:21], v[28:29], v[20:21]
	v_add_f64 v[16:17], v[28:29], -v[16:17]
	v_add_f64 v[38:39], v[2:3], v[14:15]
	v_add_f64 v[14:15], v[14:15], -v[6:7]
	v_add_f64 v[4:5], v[4:5], -v[0:1]
	v_add_f64 v[57:58], v[6:7], -v[2:3]
	v_add_f64 v[12:13], v[0:1], -v[12:13]
	v_add_f64 v[24:25], v[51:52], v[0:1]
	v_mul_f64 v[22:23], v[22:23], s[4:5]
	v_mul_f64 v[26:27], v[26:27], s[4:5]
	;; [unrolled: 1-line block ×5, first 2 shown]
	v_add_f64 v[0:1], v[32:33], v[18:19]
	v_add_f64 v[2:3], v[34:35], v[20:21]
	;; [unrolled: 1-line block ×3, first 2 shown]
	v_mul_f64 v[38:39], v[16:17], s[2:3]
	v_mul_f64 v[55:56], v[14:15], s[6:7]
	;; [unrolled: 1-line block ×3, first 2 shown]
	v_fma_f64 v[8:9], v[8:9], s[2:3], v[22:23]
	v_fma_f64 v[16:17], v[16:17], s[2:3], v[26:27]
	v_fma_f64 v[28:29], v[30:31], s[16:17], -v[28:29]
	v_fma_f64 v[22:23], v[30:31], s[18:19], -v[22:23]
	v_fma_f64 v[30:31], v[57:58], s[20:21], v[51:52]
	v_fma_f64 v[34:35], v[12:13], s[20:21], v[53:54]
	v_fma_f64 v[18:19], v[18:19], s[10:11], v[0:1]
	v_fma_f64 v[20:21], v[20:21], s[10:11], v[2:3]
	v_fma_f64 v[32:33], v[36:37], s[16:17], -v[38:39]
	v_fma_f64 v[26:27], v[36:37], s[18:19], -v[26:27]
	;; [unrolled: 1-line block ×6, first 2 shown]
	v_fma_f64 v[30:31], v[6:7], s[22:23], v[30:31]
	v_fma_f64 v[34:35], v[24:25], s[22:23], v[34:35]
	v_add_f64 v[8:9], v[8:9], v[18:19]
	v_add_f64 v[53:54], v[16:17], v[20:21]
	v_fma_f64 v[51:52], v[24:25], s[22:23], v[4:5]
	v_fma_f64 v[36:37], v[6:7], s[22:23], v[36:37]
	;; [unrolled: 1-line block ×3, first 2 shown]
	v_add_f64 v[55:56], v[22:23], v[18:19]
	v_add_f64 v[26:27], v[26:27], v[20:21]
	v_fma_f64 v[38:39], v[6:7], s[22:23], v[14:15]
	v_add_f64 v[22:23], v[28:29], v[18:19]
	v_add_f64 v[28:29], v[32:33], v[20:21]
	;; [unrolled: 1-line block ×3, first 2 shown]
	v_add_f64 v[6:7], v[53:54], -v[30:31]
	v_add_f64 v[30:31], v[30:31], v[53:54]
	v_add_f64 v[12:13], v[24:25], v[55:56]
	v_add_f64 v[14:15], v[26:27], -v[36:37]
	v_add_f64 v[24:25], v[55:56], -v[24:25]
	;; [unrolled: 1-line block ×3, first 2 shown]
	v_add_f64 v[18:19], v[38:39], v[28:29]
	v_add_f64 v[20:21], v[51:52], v[22:23]
	v_add_f64 v[22:23], v[28:29], -v[38:39]
	v_add_f64 v[26:27], v[36:37], v[26:27]
	v_add_f64 v[28:29], v[8:9], -v[34:35]
	ds_write_b128 v46, v[0:3]
	ds_write_b128 v46, v[4:7] offset:480
	ds_write_b128 v46, v[12:15] offset:960
	ds_write_b128 v46, v[16:19] offset:1440
	ds_write_b128 v46, v[20:23] offset:1920
	ds_write_b128 v46, v[24:27] offset:2400
	ds_write_b128 v46, v[28:31] offset:2880
	v_mul_u32_u24_e32 v0, 6, v40
	v_lshlrev_b32_e32 v8, 4, v0
	s_waitcnt lgkmcnt(0)
	s_barrier
	global_load_dwordx4 v[0:3], v8, s[8:9] offset:3328
	global_load_dwordx4 v[4:7], v8, s[8:9] offset:3344
	;; [unrolled: 1-line block ×6, first 2 shown]
	ds_read_b128 v[28:31], v50
	ds_read_b128 v[32:35], v11
	;; [unrolled: 1-line block ×4, first 2 shown]
	ds_read_b128 v[55:58], v49 offset:13440
	ds_read_b128 v[59:62], v49 offset:16800
	;; [unrolled: 1-line block ×3, first 2 shown]
	s_waitcnt vmcnt(0) lgkmcnt(0)
	s_barrier
	v_mul_f64 v[8:9], v[30:31], v[2:3]
	v_mul_f64 v[2:3], v[28:29], v[2:3]
	;; [unrolled: 1-line block ×8, first 2 shown]
	v_fma_f64 v[8:9], v[28:29], v[0:1], v[8:9]
	v_mul_f64 v[28:29], v[61:62], v[26:27]
	v_mul_f64 v[26:27], v[59:60], v[26:27]
	v_fma_f64 v[0:1], v[30:31], v[0:1], -v[2:3]
	v_mul_f64 v[2:3], v[57:58], v[22:23]
	v_mul_f64 v[22:23], v[55:56], v[22:23]
	v_fma_f64 v[30:31], v[32:33], v[4:5], v[67:68]
	v_fma_f64 v[4:5], v[34:35], v[4:5], -v[6:7]
	v_fma_f64 v[6:7], v[63:64], v[16:17], v[71:72]
	v_fma_f64 v[16:17], v[65:66], v[16:17], -v[18:19]
	;; [unrolled: 2-line block ×5, first 2 shown]
	v_add_f64 v[22:23], v[8:9], v[6:7]
	v_add_f64 v[26:27], v[0:1], v[16:17]
	v_add_f64 v[6:7], v[8:9], -v[6:7]
	v_add_f64 v[0:1], v[0:1], -v[16:17]
	v_add_f64 v[8:9], v[30:31], v[14:15]
	v_add_f64 v[16:17], v[4:5], v[24:25]
	v_add_f64 v[14:15], v[30:31], -v[14:15]
	v_add_f64 v[4:5], v[4:5], -v[24:25]
	v_add_f64 v[24:25], v[18:19], v[2:3]
	v_add_f64 v[28:29], v[12:13], v[20:21]
	v_add_f64 v[2:3], v[2:3], -v[18:19]
	v_add_f64 v[12:13], v[20:21], -v[12:13]
	v_add_f64 v[18:19], v[8:9], v[22:23]
	v_add_f64 v[20:21], v[16:17], v[26:27]
	v_add_f64 v[30:31], v[8:9], -v[22:23]
	v_add_f64 v[32:33], v[16:17], -v[26:27]
	v_add_f64 v[22:23], v[22:23], -v[24:25]
	v_add_f64 v[26:27], v[26:27], -v[28:29]
	;; [unrolled: 1-line block ×4, first 2 shown]
	v_add_f64 v[34:35], v[2:3], v[14:15]
	v_add_f64 v[36:37], v[12:13], v[4:5]
	v_add_f64 v[38:39], v[2:3], -v[14:15]
	v_add_f64 v[55:56], v[12:13], -v[4:5]
	v_add_f64 v[18:19], v[24:25], v[18:19]
	v_add_f64 v[20:21], v[28:29], v[20:21]
	v_add_f64 v[14:15], v[14:15], -v[6:7]
	v_add_f64 v[4:5], v[4:5], -v[0:1]
	;; [unrolled: 1-line block ×4, first 2 shown]
	v_add_f64 v[6:7], v[34:35], v[6:7]
	v_add_f64 v[24:25], v[36:37], v[0:1]
	v_mul_f64 v[22:23], v[22:23], s[4:5]
	v_mul_f64 v[26:27], v[26:27], s[4:5]
	;; [unrolled: 1-line block ×6, first 2 shown]
	v_add_f64 v[0:1], v[51:52], v[18:19]
	v_add_f64 v[2:3], v[53:54], v[20:21]
	v_mul_f64 v[55:56], v[14:15], s[6:7]
	v_mul_f64 v[59:60], v[4:5], s[6:7]
	v_fma_f64 v[8:9], v[8:9], s[2:3], v[22:23]
	v_fma_f64 v[16:17], v[16:17], s[2:3], v[26:27]
	v_fma_f64 v[28:29], v[30:31], s[16:17], -v[28:29]
	v_fma_f64 v[34:35], v[32:33], s[16:17], -v[34:35]
	;; [unrolled: 1-line block ×4, first 2 shown]
	v_fma_f64 v[30:31], v[57:58], s[20:21], v[36:37]
	v_fma_f64 v[32:33], v[12:13], s[20:21], v[38:39]
	;; [unrolled: 1-line block ×4, first 2 shown]
	v_fma_f64 v[14:15], v[14:15], s[6:7], -v[36:37]
	v_fma_f64 v[4:5], v[4:5], s[6:7], -v[38:39]
	;; [unrolled: 1-line block ×4, first 2 shown]
	v_fma_f64 v[30:31], v[6:7], s[22:23], v[30:31]
	v_fma_f64 v[32:33], v[24:25], s[22:23], v[32:33]
	v_add_f64 v[8:9], v[8:9], v[18:19]
	v_add_f64 v[53:54], v[16:17], v[20:21]
	;; [unrolled: 1-line block ×3, first 2 shown]
	v_fma_f64 v[51:52], v[24:25], s[22:23], v[4:5]
	v_fma_f64 v[36:37], v[6:7], s[22:23], v[36:37]
	v_fma_f64 v[24:25], v[24:25], s[22:23], v[12:13]
	v_add_f64 v[26:27], v[26:27], v[20:21]
	v_fma_f64 v[38:39], v[6:7], s[22:23], v[14:15]
	v_add_f64 v[22:23], v[28:29], v[18:19]
	v_add_f64 v[28:29], v[34:35], v[20:21]
	;; [unrolled: 1-line block ×3, first 2 shown]
	v_add_f64 v[6:7], v[53:54], -v[30:31]
	v_add_f64 v[30:31], v[30:31], v[53:54]
	v_add_f64 v[12:13], v[24:25], v[55:56]
	v_add_f64 v[14:15], v[26:27], -v[36:37]
	v_add_f64 v[24:25], v[55:56], -v[24:25]
	;; [unrolled: 1-line block ×3, first 2 shown]
	v_add_f64 v[18:19], v[38:39], v[28:29]
	v_add_f64 v[20:21], v[51:52], v[22:23]
	v_add_f64 v[22:23], v[28:29], -v[38:39]
	v_add_f64 v[26:27], v[36:37], v[26:27]
	v_add_f64 v[28:29], v[8:9], -v[32:33]
	ds_write_b128 v49, v[0:3]
	ds_write_b128 v49, v[4:7] offset:3360
	ds_write_b128 v49, v[12:15] offset:6720
	;; [unrolled: 1-line block ×6, first 2 shown]
	s_waitcnt lgkmcnt(0)
	s_barrier
	ds_read_b128 v[4:7], v49
	s_add_u32 s6, s8, 0x5bc0
	s_addc_u32 s7, s9, 0
	v_sub_u32_e32 v12, 0, v41
	v_cmp_ne_u32_e64 s[2:3], 0, v40
                                        ; implicit-def: $vgpr2_vgpr3
                                        ; implicit-def: $vgpr8_vgpr9
	s_and_saveexec_b64 s[4:5], s[2:3]
	s_xor_b64 s[4:5], exec, s[4:5]
	s_cbranch_execz .LBB0_25
; %bb.24:
	v_mov_b32_e32 v41, 0
	v_lshlrev_b64 v[0:1], 4, v[40:41]
	v_mov_b32_e32 v2, s7
	v_add_co_u32_e64 v0, s[2:3], s6, v0
	v_addc_co_u32_e64 v1, s[2:3], v2, v1, s[2:3]
	global_load_dwordx4 v[13:16], v[0:1], off
	ds_read_b128 v[0:3], v12 offset:23520
	s_waitcnt lgkmcnt(0)
	v_add_f64 v[8:9], v[4:5], -v[0:1]
	v_add_f64 v[17:18], v[6:7], v[2:3]
	v_add_f64 v[2:3], v[6:7], -v[2:3]
	v_add_f64 v[0:1], v[4:5], v[0:1]
	v_mul_f64 v[6:7], v[8:9], 0.5
	v_mul_f64 v[4:5], v[17:18], 0.5
	;; [unrolled: 1-line block ×3, first 2 shown]
	s_waitcnt vmcnt(0)
	v_mul_f64 v[8:9], v[6:7], v[15:16]
	v_fma_f64 v[17:18], v[4:5], v[15:16], v[2:3]
	v_fma_f64 v[2:3], v[4:5], v[15:16], -v[2:3]
	v_fma_f64 v[19:20], v[0:1], 0.5, v[8:9]
	v_fma_f64 v[0:1], v[0:1], 0.5, -v[8:9]
	v_fma_f64 v[8:9], -v[13:14], v[6:7], v[17:18]
	v_fma_f64 v[2:3], -v[13:14], v[6:7], v[2:3]
	v_fma_f64 v[15:16], v[4:5], v[13:14], v[19:20]
	v_fma_f64 v[0:1], -v[4:5], v[13:14], v[0:1]
                                        ; implicit-def: $vgpr4_vgpr5
	ds_write_b64 v49, v[15:16]
.LBB0_25:
	s_andn2_saveexec_b64 s[2:3], s[4:5]
	s_cbranch_execz .LBB0_27
; %bb.26:
	s_waitcnt lgkmcnt(0)
	v_add_f64 v[2:3], v[4:5], v[6:7]
	v_mov_b32_e32 v15, 0
	ds_read_b64 v[13:14], v15 offset:11768
	v_add_f64 v[0:1], v[4:5], -v[6:7]
	v_mov_b32_e32 v8, 0
	v_mov_b32_e32 v9, 0
	s_waitcnt lgkmcnt(0)
	v_xor_b32_e32 v14, 0x80000000, v14
	ds_write_b64 v15, v[13:14] offset:11768
	ds_write_b64 v49, v[2:3]
	v_mov_b32_e32 v2, v8
	v_mov_b32_e32 v3, v9
.LBB0_27:
	s_or_b64 exec, exec, s[2:3]
	v_mov_b32_e32 v46, 0
	s_waitcnt lgkmcnt(0)
	v_lshlrev_b64 v[4:5], 4, v[45:46]
	v_mov_b32_e32 v6, s7
	v_add_co_u32_e64 v4, s[2:3], s6, v4
	v_addc_co_u32_e64 v5, s[2:3], v6, v5, s[2:3]
	global_load_dwordx4 v[4:7], v[4:5], off
	v_mov_b32_e32 v48, v46
	v_lshlrev_b64 v[13:14], 4, v[47:48]
	v_mov_b32_e32 v15, s7
	v_add_co_u32_e64 v13, s[2:3], s6, v13
	v_addc_co_u32_e64 v14, s[2:3], v15, v14, s[2:3]
	global_load_dwordx4 v[13:16], v[13:14], off
	ds_write_b64 v49, v[8:9] offset:8
	ds_write_b128 v12, v[0:3] offset:23520
	ds_read_b128 v[0:3], v50
	ds_read_b128 v[17:20], v12 offset:20160
	s_waitcnt lgkmcnt(0)
	v_add_f64 v[8:9], v[0:1], -v[17:18]
	v_add_f64 v[21:22], v[2:3], v[19:20]
	v_add_f64 v[2:3], v[2:3], -v[19:20]
	v_add_f64 v[0:1], v[0:1], v[17:18]
	v_mul_f64 v[8:9], v[8:9], 0.5
	v_mul_f64 v[19:20], v[21:22], 0.5
	;; [unrolled: 1-line block ×3, first 2 shown]
	s_waitcnt vmcnt(1)
	v_mul_f64 v[17:18], v[8:9], v[6:7]
	v_fma_f64 v[21:22], v[19:20], v[6:7], v[2:3]
	v_fma_f64 v[6:7], v[19:20], v[6:7], -v[2:3]
	v_fma_f64 v[23:24], v[0:1], 0.5, v[17:18]
	v_fma_f64 v[17:18], v[0:1], 0.5, -v[17:18]
	v_fma_f64 v[2:3], -v[4:5], v[8:9], v[21:22]
	v_fma_f64 v[6:7], -v[4:5], v[8:9], v[6:7]
	v_fma_f64 v[0:1], v[19:20], v[4:5], v[23:24]
	v_fma_f64 v[4:5], -v[19:20], v[4:5], v[17:18]
	ds_write_b128 v50, v[0:3]
	ds_write_b128 v12, v[4:7] offset:20160
	ds_read_b128 v[0:3], v11
	ds_read_b128 v[4:7], v12 offset:16800
	s_waitcnt lgkmcnt(0)
	v_add_f64 v[8:9], v[0:1], -v[4:5]
	v_add_f64 v[17:18], v[2:3], v[6:7]
	v_add_f64 v[2:3], v[2:3], -v[6:7]
	v_add_f64 v[0:1], v[0:1], v[4:5]
	v_mul_f64 v[6:7], v[8:9], 0.5
	v_mul_f64 v[8:9], v[17:18], 0.5
	;; [unrolled: 1-line block ×3, first 2 shown]
	s_waitcnt vmcnt(0)
	v_mul_f64 v[4:5], v[6:7], v[15:16]
	v_fma_f64 v[17:18], v[8:9], v[15:16], v[2:3]
	v_fma_f64 v[15:16], v[8:9], v[15:16], -v[2:3]
	v_fma_f64 v[19:20], v[0:1], 0.5, v[4:5]
	v_fma_f64 v[4:5], v[0:1], 0.5, -v[4:5]
	v_fma_f64 v[2:3], -v[13:14], v[6:7], v[17:18]
	v_fma_f64 v[6:7], -v[13:14], v[6:7], v[15:16]
	v_fma_f64 v[0:1], v[8:9], v[13:14], v[19:20]
	v_fma_f64 v[4:5], -v[8:9], v[13:14], v[4:5]
	ds_write_b128 v11, v[0:3]
	ds_write_b128 v12, v[4:7] offset:16800
	s_and_saveexec_b64 s[2:3], vcc
	s_cbranch_execz .LBB0_29
; %bb.28:
	v_mov_b32_e32 v45, v46
	v_lshlrev_b64 v[0:1], 4, v[44:45]
	v_mov_b32_e32 v2, s7
	v_add_co_u32_e32 v0, vcc, s6, v0
	v_addc_co_u32_e32 v1, vcc, v2, v1, vcc
	global_load_dwordx4 v[0:3], v[0:1], off
	ds_read_b128 v[4:7], v10
	ds_read_b128 v[13:16], v12 offset:13440
	s_waitcnt lgkmcnt(0)
	v_add_f64 v[8:9], v[4:5], -v[13:14]
	v_add_f64 v[17:18], v[6:7], v[15:16]
	v_add_f64 v[6:7], v[6:7], -v[15:16]
	v_add_f64 v[4:5], v[4:5], v[13:14]
	v_mul_f64 v[8:9], v[8:9], 0.5
	v_mul_f64 v[15:16], v[17:18], 0.5
	;; [unrolled: 1-line block ×3, first 2 shown]
	s_waitcnt vmcnt(0)
	v_mul_f64 v[13:14], v[8:9], v[2:3]
	v_fma_f64 v[17:18], v[15:16], v[2:3], v[6:7]
	v_fma_f64 v[2:3], v[15:16], v[2:3], -v[6:7]
	v_fma_f64 v[6:7], v[4:5], 0.5, v[13:14]
	v_fma_f64 v[13:14], v[4:5], 0.5, -v[13:14]
	v_fma_f64 v[4:5], -v[0:1], v[8:9], v[17:18]
	v_fma_f64 v[8:9], -v[0:1], v[8:9], v[2:3]
	v_fma_f64 v[2:3], v[15:16], v[0:1], v[6:7]
	v_fma_f64 v[6:7], -v[15:16], v[0:1], v[13:14]
	ds_write_b128 v10, v[2:5]
	ds_write_b128 v12, v[6:9] offset:13440
.LBB0_29:
	s_or_b64 exec, exec, s[2:3]
	s_waitcnt lgkmcnt(0)
	s_barrier
	s_and_saveexec_b64 s[2:3], s[0:1]
	s_cbranch_execz .LBB0_32
; %bb.30:
	v_mov_b32_e32 v41, 0
	ds_read_b128 v[2:5], v49
	ds_read_b128 v[6:9], v49 offset:3360
	v_mov_b32_e32 v0, s13
	v_add_co_u32_e32 v1, vcc, s12, v42
	v_lshlrev_b64 v[10:11], 4, v[40:41]
	v_addc_co_u32_e32 v0, vcc, v0, v43, vcc
	v_add_co_u32_e32 v10, vcc, v1, v10
	v_addc_co_u32_e32 v11, vcc, v0, v11, vcc
	s_waitcnt lgkmcnt(1)
	global_store_dwordx4 v[10:11], v[2:5], off
	s_waitcnt lgkmcnt(0)
	global_store_dwordx4 v[10:11], v[6:9], off offset:3360
	ds_read_b128 v[2:5], v49 offset:6720
	ds_read_b128 v[6:9], v49 offset:10080
	v_add_co_u32_e32 v12, vcc, 0x1000, v10
	v_addc_co_u32_e32 v13, vcc, 0, v11, vcc
	s_waitcnt lgkmcnt(1)
	global_store_dwordx4 v[12:13], v[2:5], off offset:2624
	s_movk_i32 s0, 0xd1
	v_add_co_u32_e32 v2, vcc, 0x2000, v10
	v_addc_co_u32_e32 v3, vcc, 0, v11, vcc
	s_waitcnt lgkmcnt(0)
	global_store_dwordx4 v[2:3], v[6:9], off offset:1888
	ds_read_b128 v[2:5], v49 offset:13440
	ds_read_b128 v[6:9], v49 offset:16800
	v_add_co_u32_e32 v12, vcc, 0x3000, v10
	v_addc_co_u32_e32 v13, vcc, 0, v11, vcc
	s_waitcnt lgkmcnt(1)
	global_store_dwordx4 v[12:13], v[2:5], off offset:1152
	ds_read_b128 v[2:5], v49 offset:20160
	v_add_co_u32_e32 v10, vcc, 0x4000, v10
	v_addc_co_u32_e32 v11, vcc, 0, v11, vcc
	v_cmp_eq_u32_e32 vcc, s0, v40
	s_waitcnt lgkmcnt(1)
	global_store_dwordx4 v[10:11], v[6:9], off offset:416
	s_waitcnt lgkmcnt(0)
	global_store_dwordx4 v[10:11], v[2:5], off offset:3776
	s_and_b64 exec, exec, vcc
	s_cbranch_execz .LBB0_32
; %bb.31:
	ds_read_b128 v[2:5], v41 offset:23520
	v_add_co_u32_e32 v6, vcc, 0x5000, v1
	v_addc_co_u32_e32 v7, vcc, 0, v0, vcc
	s_waitcnt lgkmcnt(0)
	global_store_dwordx4 v[6:7], v[2:5], off offset:3040
.LBB0_32:
	s_endpgm
	.section	.rodata,"a",@progbits
	.p2align	6, 0x0
	.amdhsa_kernel fft_rtc_back_len1470_factors_2_3_5_7_7_wgs_210_tpt_210_halfLds_dp_ip_CI_unitstride_sbrr_R2C_dirReg
		.amdhsa_group_segment_fixed_size 0
		.amdhsa_private_segment_fixed_size 0
		.amdhsa_kernarg_size 88
		.amdhsa_user_sgpr_count 6
		.amdhsa_user_sgpr_private_segment_buffer 1
		.amdhsa_user_sgpr_dispatch_ptr 0
		.amdhsa_user_sgpr_queue_ptr 0
		.amdhsa_user_sgpr_kernarg_segment_ptr 1
		.amdhsa_user_sgpr_dispatch_id 0
		.amdhsa_user_sgpr_flat_scratch_init 0
		.amdhsa_user_sgpr_private_segment_size 0
		.amdhsa_uses_dynamic_stack 0
		.amdhsa_system_sgpr_private_segment_wavefront_offset 0
		.amdhsa_system_sgpr_workgroup_id_x 1
		.amdhsa_system_sgpr_workgroup_id_y 0
		.amdhsa_system_sgpr_workgroup_id_z 0
		.amdhsa_system_sgpr_workgroup_info 0
		.amdhsa_system_vgpr_workitem_id 0
		.amdhsa_next_free_vgpr 81
		.amdhsa_next_free_sgpr 26
		.amdhsa_reserve_vcc 1
		.amdhsa_reserve_flat_scratch 0
		.amdhsa_float_round_mode_32 0
		.amdhsa_float_round_mode_16_64 0
		.amdhsa_float_denorm_mode_32 3
		.amdhsa_float_denorm_mode_16_64 3
		.amdhsa_dx10_clamp 1
		.amdhsa_ieee_mode 1
		.amdhsa_fp16_overflow 0
		.amdhsa_exception_fp_ieee_invalid_op 0
		.amdhsa_exception_fp_denorm_src 0
		.amdhsa_exception_fp_ieee_div_zero 0
		.amdhsa_exception_fp_ieee_overflow 0
		.amdhsa_exception_fp_ieee_underflow 0
		.amdhsa_exception_fp_ieee_inexact 0
		.amdhsa_exception_int_div_zero 0
	.end_amdhsa_kernel
	.text
.Lfunc_end0:
	.size	fft_rtc_back_len1470_factors_2_3_5_7_7_wgs_210_tpt_210_halfLds_dp_ip_CI_unitstride_sbrr_R2C_dirReg, .Lfunc_end0-fft_rtc_back_len1470_factors_2_3_5_7_7_wgs_210_tpt_210_halfLds_dp_ip_CI_unitstride_sbrr_R2C_dirReg
                                        ; -- End function
	.section	.AMDGPU.csdata,"",@progbits
; Kernel info:
; codeLenInByte = 7780
; NumSgprs: 30
; NumVgprs: 81
; ScratchSize: 0
; MemoryBound: 0
; FloatMode: 240
; IeeeMode: 1
; LDSByteSize: 0 bytes/workgroup (compile time only)
; SGPRBlocks: 3
; VGPRBlocks: 20
; NumSGPRsForWavesPerEU: 30
; NumVGPRsForWavesPerEU: 81
; Occupancy: 3
; WaveLimiterHint : 1
; COMPUTE_PGM_RSRC2:SCRATCH_EN: 0
; COMPUTE_PGM_RSRC2:USER_SGPR: 6
; COMPUTE_PGM_RSRC2:TRAP_HANDLER: 0
; COMPUTE_PGM_RSRC2:TGID_X_EN: 1
; COMPUTE_PGM_RSRC2:TGID_Y_EN: 0
; COMPUTE_PGM_RSRC2:TGID_Z_EN: 0
; COMPUTE_PGM_RSRC2:TIDIG_COMP_CNT: 0
	.type	__hip_cuid_20c1803307943c0b,@object ; @__hip_cuid_20c1803307943c0b
	.section	.bss,"aw",@nobits
	.globl	__hip_cuid_20c1803307943c0b
__hip_cuid_20c1803307943c0b:
	.byte	0                               ; 0x0
	.size	__hip_cuid_20c1803307943c0b, 1

	.ident	"AMD clang version 19.0.0git (https://github.com/RadeonOpenCompute/llvm-project roc-6.4.0 25133 c7fe45cf4b819c5991fe208aaa96edf142730f1d)"
	.section	".note.GNU-stack","",@progbits
	.addrsig
	.addrsig_sym __hip_cuid_20c1803307943c0b
	.amdgpu_metadata
---
amdhsa.kernels:
  - .args:
      - .actual_access:  read_only
        .address_space:  global
        .offset:         0
        .size:           8
        .value_kind:     global_buffer
      - .offset:         8
        .size:           8
        .value_kind:     by_value
      - .actual_access:  read_only
        .address_space:  global
        .offset:         16
        .size:           8
        .value_kind:     global_buffer
      - .actual_access:  read_only
        .address_space:  global
        .offset:         24
        .size:           8
        .value_kind:     global_buffer
      - .offset:         32
        .size:           8
        .value_kind:     by_value
      - .actual_access:  read_only
        .address_space:  global
        .offset:         40
        .size:           8
        .value_kind:     global_buffer
      - .actual_access:  read_only
        .address_space:  global
        .offset:         48
        .size:           8
        .value_kind:     global_buffer
      - .offset:         56
        .size:           4
        .value_kind:     by_value
      - .actual_access:  read_only
        .address_space:  global
        .offset:         64
        .size:           8
        .value_kind:     global_buffer
      - .actual_access:  read_only
        .address_space:  global
        .offset:         72
        .size:           8
        .value_kind:     global_buffer
      - .address_space:  global
        .offset:         80
        .size:           8
        .value_kind:     global_buffer
    .group_segment_fixed_size: 0
    .kernarg_segment_align: 8
    .kernarg_segment_size: 88
    .language:       OpenCL C
    .language_version:
      - 2
      - 0
    .max_flat_workgroup_size: 210
    .name:           fft_rtc_back_len1470_factors_2_3_5_7_7_wgs_210_tpt_210_halfLds_dp_ip_CI_unitstride_sbrr_R2C_dirReg
    .private_segment_fixed_size: 0
    .sgpr_count:     30
    .sgpr_spill_count: 0
    .symbol:         fft_rtc_back_len1470_factors_2_3_5_7_7_wgs_210_tpt_210_halfLds_dp_ip_CI_unitstride_sbrr_R2C_dirReg.kd
    .uniform_work_group_size: 1
    .uses_dynamic_stack: false
    .vgpr_count:     81
    .vgpr_spill_count: 0
    .wavefront_size: 64
amdhsa.target:   amdgcn-amd-amdhsa--gfx906
amdhsa.version:
  - 1
  - 2
...

	.end_amdgpu_metadata
